;; amdgpu-corpus repo=zjin-lcf/HeCBench kind=compiled arch=gfx1250 opt=O3
	.amdgcn_target "amdgcn-amd-amdhsa--gfx1250"
	.amdhsa_code_object_version 6
	.section	.text._Z11dense_esuhmIfEvPKT_S2_PS0_iPKi,"axG",@progbits,_Z11dense_esuhmIfEvPKT_S2_PS0_iPKi,comdat
	.protected	_Z11dense_esuhmIfEvPKT_S2_PS0_iPKi ; -- Begin function _Z11dense_esuhmIfEvPKT_S2_PS0_iPKi
	.globl	_Z11dense_esuhmIfEvPKT_S2_PS0_iPKi
	.p2align	8
	.type	_Z11dense_esuhmIfEvPKT_S2_PS0_iPKi,@function
_Z11dense_esuhmIfEvPKT_S2_PS0_iPKi:     ; @_Z11dense_esuhmIfEvPKT_S2_PS0_iPKi
; %bb.0:
	s_load_b32 s2, s[0:1], 0x18
	s_mov_b32 s3, exec_lo
	s_wait_kmcnt 0x0
	v_cmpx_gt_i32_e64 s2, v0
	s_cbranch_execz .LBB0_11
; %bb.1:
	s_clause 0x1
	s_load_b32 s3, s[0:1], 0x34
	s_load_b64 s[4:5], s[0:1], 0x20
	s_bfe_u32 s6, ttmp6, 0x4000c
	s_and_b32 s7, ttmp6, 15
	s_add_co_i32 s6, s6, 1
	s_getreg_b32 s8, hwreg(HW_REG_IB_STS2, 6, 4)
	s_mul_i32 s6, ttmp9, s6
	v_dual_add_nc_u32 v1, 1, v0 :: v_dual_sub_nc_u32 v8, 0, v0
	s_add_co_i32 s7, s7, s6
	v_mov_b32_e32 v9, v0
	s_mov_b32 s13, 0
	s_delay_alu instid0(VALU_DEP_2) | instskip(SKIP_4) | instid1(SALU_CYCLE_1)
	v_mov_b32_e32 v10, v1
	s_wait_kmcnt 0x0
	s_and_b32 s12, s3, 0xffff
	s_cmp_eq_u32 s8, 0
	s_cselect_b32 s14, ttmp9, s7
	s_ashr_i32 s15, s14, 31
	s_delay_alu instid0(SALU_CYCLE_1)
	s_lshl_b64 s[6:7], s[14:15], 2
	s_mul_i32 s14, s2, s14
	s_add_nc_u64 s[16:17], s[4:5], s[6:7]
	s_load_b64 s[8:9], s[16:17], 0x0
	s_clause 0x1
	s_load_b128 s[4:7], s[0:1], 0x0
	s_load_b64 s[10:11], s[0:1], 0x10
	s_wait_kmcnt 0x0
	s_sub_co_i32 s15, s9, s8
	s_cmp_eq_u32 s2, 1
	v_add_nc_u32_e32 v11, s8, v0
	s_cselect_b32 s16, -1, 0
	s_ashr_i32 s3, s2, 31
	s_ashr_i32 s9, s8, 31
	s_lshl_b64 s[0:1], s[2:3], 2
	s_mov_b32 s3, 0
	s_branch .LBB0_3
.LBB0_2:                                ;   in Loop: Header=BB0_3 Depth=1
	s_or_b32 exec_lo, exec_lo, s17
	v_dual_add_nc_u32 v9, s12, v9 :: v_dual_add_nc_u32 v11, s12, v11
	v_add_nc_u32_e32 v10, s12, v10
	v_subrev_nc_u32_e32 v8, s12, v8
	s_add_co_i32 s3, s3, 1
	s_delay_alu instid0(VALU_DEP_3) | instskip(SKIP_1) | instid1(SALU_CYCLE_1)
	v_cmp_le_i32_e32 vcc_lo, s2, v9
	s_or_b32 s13, vcc_lo, s13
	s_and_not1_b32 exec_lo, exec_lo, s13
	s_cbranch_execz .LBB0_11
.LBB0_3:                                ; =>This Loop Header: Depth=1
                                        ;     Child Loop BB0_6 Depth 2
                                        ;     Child Loop BB0_10 Depth 2
	s_mov_b32 s17, exec_lo
	v_cmpx_gt_i32_e64 s15, v9
	s_cbranch_execz .LBB0_2
; %bb.4:                                ;   in Loop: Header=BB0_3 Depth=1
	s_mul_i32 s18, s3, s12
	s_wait_loadcnt 0x0
	v_dual_add_nc_u32 v2, s14, v9 :: v_dual_add_nc_u32 v4, s18, v0
	v_add_max_i32_e64 v3, v1, s18, s15
	s_mov_b32 s19, -1
	global_load_b32 v2, v2, s[6:7] scale_offset
	v_dual_sub_nc_u32 v6, v3, v4 :: v_dual_mov_b32 v4, v9
	s_delay_alu instid0(VALU_DEP_1)
	v_cmp_lt_u32_e32 vcc_lo, 1, v6
	s_and_b32 s20, vcc_lo, s16
	s_wait_xcnt 0x0
	s_and_saveexec_b32 s18, s20
	s_cbranch_execz .LBB0_8
; %bb.5:                                ;   in Loop: Header=BB0_3 Depth=1
	v_max_i32_e32 v3, s15, v10
	s_mov_b32 s19, 0
	s_wait_loadcnt 0x0
	s_delay_alu instid0(VALU_DEP_1) | instskip(NEXT) | instid1(VALU_DEP_1)
	v_dual_mov_b32 v3, v2 :: v_dual_add_nc_u32 v4, v3, v8
	v_dual_mov_b32 v4, v11 :: v_dual_bitop2_b32 v7, -2, v4 bitop3:0x40
.LBB0_6:                                ;   Parent Loop BB0_3 Depth=1
                                        ; =>  This Inner Loop Header: Depth=2
	s_delay_alu instid0(VALU_DEP_1) | instskip(NEXT) | instid1(VALU_DEP_1)
	v_dual_ashrrev_i32 v5, 31, v4 :: v_dual_add_nc_u32 v7, -2, v7
	v_lshlrev_b64_e32 v[12:13], 2, v[4:5]
	s_delay_alu instid0(VALU_DEP_2) | instskip(SKIP_2) | instid1(VALU_DEP_3)
	v_cmp_eq_u32_e32 vcc_lo, 0, v7
	v_add_nc_u32_e32 v4, 2, v4
	s_or_b32 s19, vcc_lo, s19
	v_add_nc_u64_e32 v[14:15], s[4:5], v[12:13]
	v_add_nc_u64_e32 v[12:13], s[10:11], v[12:13]
	global_load_b64 v[14:15], v[14:15], off
	s_wait_loadcnt 0x0
	s_wait_xcnt 0x0
	v_pk_add_f32 v[14:15], v[2:3], v[14:15]
	global_store_b64 v[12:13], v[14:15], off
	s_wait_xcnt 0x0
	s_and_not1_b32 exec_lo, exec_lo, s19
	s_cbranch_execnz .LBB0_6
; %bb.7:                                ;   in Loop: Header=BB0_3 Depth=1
	s_or_b32 exec_lo, exec_lo, s19
	v_and_b32_e32 v3, -2, v6
	s_delay_alu instid0(VALU_DEP_1)
	v_cmp_ne_u32_e32 vcc_lo, v6, v3
	v_add_nc_u32_e32 v4, v9, v3
	s_or_not1_b32 s19, vcc_lo, exec_lo
.LBB0_8:                                ;   in Loop: Header=BB0_3 Depth=1
	s_or_b32 exec_lo, exec_lo, s18
	s_delay_alu instid0(SALU_CYCLE_1)
	s_and_b32 exec_lo, exec_lo, s19
	s_cbranch_execz .LBB0_2
; %bb.9:                                ;   in Loop: Header=BB0_3 Depth=1
	v_ashrrev_i32_e32 v5, 31, v4
	s_mov_b32 s18, 0
	s_delay_alu instid0(VALU_DEP_1) | instskip(NEXT) | instid1(VALU_DEP_1)
	v_add_nc_u64_e32 v[6:7], s[8:9], v[4:5]
	v_lshlrev_b64_e32 v[6:7], 2, v[6:7]
.LBB0_10:                               ;   Parent Loop BB0_3 Depth=1
                                        ; =>  This Inner Loop Header: Depth=2
	s_delay_alu instid0(VALU_DEP_1)
	v_add_nc_u64_e32 v[12:13], s[4:5], v[6:7]
	global_load_b32 v3, v[12:13], off
	v_add_nc_u32_e32 v4, s2, v4
	s_wait_xcnt 0x0
	v_add_nc_u64_e32 v[12:13], s[10:11], v[6:7]
	v_add_nc_u64_e32 v[6:7], s[0:1], v[6:7]
	s_wait_loadcnt 0x0
	v_add_f32_e32 v3, v2, v3
	v_cmp_le_i32_e32 vcc_lo, s15, v4
	global_store_b32 v[12:13], v3, off
	s_or_b32 s18, vcc_lo, s18
	s_wait_xcnt 0x0
	s_and_not1_b32 exec_lo, exec_lo, s18
	s_cbranch_execnz .LBB0_10
	s_branch .LBB0_2
.LBB0_11:
	s_endpgm
	.section	.rodata,"a",@progbits
	.p2align	6, 0x0
	.amdhsa_kernel _Z11dense_esuhmIfEvPKT_S2_PS0_iPKi
		.amdhsa_group_segment_fixed_size 0
		.amdhsa_private_segment_fixed_size 0
		.amdhsa_kernarg_size 296
		.amdhsa_user_sgpr_count 2
		.amdhsa_user_sgpr_dispatch_ptr 0
		.amdhsa_user_sgpr_queue_ptr 0
		.amdhsa_user_sgpr_kernarg_segment_ptr 1
		.amdhsa_user_sgpr_dispatch_id 0
		.amdhsa_user_sgpr_kernarg_preload_length 0
		.amdhsa_user_sgpr_kernarg_preload_offset 0
		.amdhsa_user_sgpr_private_segment_size 0
		.amdhsa_wavefront_size32 1
		.amdhsa_uses_dynamic_stack 0
		.amdhsa_enable_private_segment 0
		.amdhsa_system_sgpr_workgroup_id_x 1
		.amdhsa_system_sgpr_workgroup_id_y 0
		.amdhsa_system_sgpr_workgroup_id_z 0
		.amdhsa_system_sgpr_workgroup_info 0
		.amdhsa_system_vgpr_workitem_id 0
		.amdhsa_next_free_vgpr 16
		.amdhsa_next_free_sgpr 21
		.amdhsa_named_barrier_count 0
		.amdhsa_reserve_vcc 1
		.amdhsa_float_round_mode_32 0
		.amdhsa_float_round_mode_16_64 0
		.amdhsa_float_denorm_mode_32 3
		.amdhsa_float_denorm_mode_16_64 3
		.amdhsa_fp16_overflow 0
		.amdhsa_memory_ordered 1
		.amdhsa_forward_progress 1
		.amdhsa_inst_pref_size 5
		.amdhsa_round_robin_scheduling 0
		.amdhsa_exception_fp_ieee_invalid_op 0
		.amdhsa_exception_fp_denorm_src 0
		.amdhsa_exception_fp_ieee_div_zero 0
		.amdhsa_exception_fp_ieee_overflow 0
		.amdhsa_exception_fp_ieee_underflow 0
		.amdhsa_exception_fp_ieee_inexact 0
		.amdhsa_exception_int_div_zero 0
	.end_amdhsa_kernel
	.section	.text._Z11dense_esuhmIfEvPKT_S2_PS0_iPKi,"axG",@progbits,_Z11dense_esuhmIfEvPKT_S2_PS0_iPKi,comdat
.Lfunc_end0:
	.size	_Z11dense_esuhmIfEvPKT_S2_PS0_iPKi, .Lfunc_end0-_Z11dense_esuhmIfEvPKT_S2_PS0_iPKi
                                        ; -- End function
	.set _Z11dense_esuhmIfEvPKT_S2_PS0_iPKi.num_vgpr, 16
	.set _Z11dense_esuhmIfEvPKT_S2_PS0_iPKi.num_agpr, 0
	.set _Z11dense_esuhmIfEvPKT_S2_PS0_iPKi.numbered_sgpr, 21
	.set _Z11dense_esuhmIfEvPKT_S2_PS0_iPKi.num_named_barrier, 0
	.set _Z11dense_esuhmIfEvPKT_S2_PS0_iPKi.private_seg_size, 0
	.set _Z11dense_esuhmIfEvPKT_S2_PS0_iPKi.uses_vcc, 1
	.set _Z11dense_esuhmIfEvPKT_S2_PS0_iPKi.uses_flat_scratch, 0
	.set _Z11dense_esuhmIfEvPKT_S2_PS0_iPKi.has_dyn_sized_stack, 0
	.set _Z11dense_esuhmIfEvPKT_S2_PS0_iPKi.has_recursion, 0
	.set _Z11dense_esuhmIfEvPKT_S2_PS0_iPKi.has_indirect_call, 0
	.section	.AMDGPU.csdata,"",@progbits
; Kernel info:
; codeLenInByte = 632
; TotalNumSgprs: 23
; NumVgprs: 16
; ScratchSize: 0
; MemoryBound: 0
; FloatMode: 240
; IeeeMode: 1
; LDSByteSize: 0 bytes/workgroup (compile time only)
; SGPRBlocks: 0
; VGPRBlocks: 0
; NumSGPRsForWavesPerEU: 23
; NumVGPRsForWavesPerEU: 16
; NamedBarCnt: 0
; Occupancy: 16
; WaveLimiterHint : 0
; COMPUTE_PGM_RSRC2:SCRATCH_EN: 0
; COMPUTE_PGM_RSRC2:USER_SGPR: 2
; COMPUTE_PGM_RSRC2:TRAP_HANDLER: 0
; COMPUTE_PGM_RSRC2:TGID_X_EN: 1
; COMPUTE_PGM_RSRC2:TGID_Y_EN: 0
; COMPUTE_PGM_RSRC2:TGID_Z_EN: 0
; COMPUTE_PGM_RSRC2:TIDIG_COMP_CNT: 0
	.section	.text._Z12dense_esuhm2IfEvPKT_S2_PS0_iPKi,"axG",@progbits,_Z12dense_esuhm2IfEvPKT_S2_PS0_iPKi,comdat
	.protected	_Z12dense_esuhm2IfEvPKT_S2_PS0_iPKi ; -- Begin function _Z12dense_esuhm2IfEvPKT_S2_PS0_iPKi
	.globl	_Z12dense_esuhm2IfEvPKT_S2_PS0_iPKi
	.p2align	8
	.type	_Z12dense_esuhm2IfEvPKT_S2_PS0_iPKi,@function
_Z12dense_esuhm2IfEvPKT_S2_PS0_iPKi:    ; @_Z12dense_esuhm2IfEvPKT_S2_PS0_iPKi
; %bb.0:
	s_load_b32 s2, s[0:1], 0x18
	s_mov_b32 s3, exec_lo
	s_wait_kmcnt 0x0
	v_cmpx_gt_i32_e64 s2, v0
	s_cbranch_execz .LBB1_11
; %bb.1:
	s_load_b64 s[4:5], s[0:1], 0x20
	s_bfe_u32 s3, ttmp6, 0x4000c
	s_and_b32 s6, ttmp6, 15
	s_add_co_i32 s3, s3, 1
	s_getreg_b32 s7, hwreg(HW_REG_IB_STS2, 6, 4)
	s_mul_i32 s3, ttmp9, s3
	v_dual_add_nc_u32 v1, 1, v0 :: v_dual_sub_nc_u32 v8, 0, v0
	s_add_co_i32 s6, s6, s3
	s_cmp_eq_u32 s7, 0
	s_load_b32 s3, s[0:1], 0x34
	s_cselect_b32 s14, ttmp9, s6
	v_dual_mov_b32 v9, v0 :: v_dual_mov_b32 v10, v1
	s_ashr_i32 s15, s14, 31
	s_delay_alu instid0(SALU_CYCLE_1)
	s_lshl_b64 s[6:7], s[14:15], 2
	s_wait_kmcnt 0x0
	s_add_nc_u64 s[12:13], s[4:5], s[6:7]
	s_load_b64 s[8:9], s[12:13], 0x0
	s_clause 0x1
	s_load_b128 s[4:7], s[0:1], 0x0
	s_load_b64 s[10:11], s[0:1], 0x10
	s_wait_xcnt 0x0
	s_mul_i32 s13, s2, s14
	s_mov_b32 s12, 0
	s_and_b32 s14, s3, 0xffff
	s_wait_kmcnt 0x0
	s_sub_co_i32 s15, s9, s8
	s_cmp_eq_u32 s2, 1
	v_add_nc_u32_e32 v11, s8, v0
	s_cselect_b32 s16, -1, 0
	s_ashr_i32 s3, s2, 31
	s_ashr_i32 s9, s8, 31
	s_lshl_b64 s[0:1], s[2:3], 2
	s_mov_b32 s3, 0
	s_branch .LBB1_3
.LBB1_2:                                ;   in Loop: Header=BB1_3 Depth=1
	s_or_b32 exec_lo, exec_lo, s17
	v_dual_add_nc_u32 v9, s14, v9 :: v_dual_add_nc_u32 v11, s14, v11
	v_add_nc_u32_e32 v10, s14, v10
	v_subrev_nc_u32_e32 v8, s14, v8
	s_add_co_i32 s3, s3, 1
	s_delay_alu instid0(VALU_DEP_3) | instskip(SKIP_1) | instid1(SALU_CYCLE_1)
	v_cmp_le_i32_e32 vcc_lo, s2, v9
	s_or_b32 s12, vcc_lo, s12
	s_and_not1_b32 exec_lo, exec_lo, s12
	s_cbranch_execz .LBB1_11
.LBB1_3:                                ; =>This Loop Header: Depth=1
                                        ;     Child Loop BB1_6 Depth 2
                                        ;     Child Loop BB1_10 Depth 2
	s_mov_b32 s17, exec_lo
	v_cmpx_gt_i32_e64 s15, v9
	s_cbranch_execz .LBB1_2
; %bb.4:                                ;   in Loop: Header=BB1_3 Depth=1
	s_mul_i32 s18, s3, s14
	s_wait_loadcnt 0x0
	v_dual_add_nc_u32 v2, s13, v9 :: v_dual_add_nc_u32 v4, s18, v0
	v_add_max_i32_e64 v3, v1, s18, s15
	s_mov_b32 s19, -1
	global_load_b32 v2, v2, s[6:7] scale_offset
	v_dual_sub_nc_u32 v6, v3, v4 :: v_dual_mov_b32 v4, v9
	s_delay_alu instid0(VALU_DEP_1)
	v_cmp_lt_u32_e32 vcc_lo, 1, v6
	s_and_b32 s20, vcc_lo, s16
	s_wait_xcnt 0x0
	s_and_saveexec_b32 s18, s20
	s_cbranch_execz .LBB1_8
; %bb.5:                                ;   in Loop: Header=BB1_3 Depth=1
	v_max_i32_e32 v3, s15, v10
	s_mov_b32 s19, 0
	s_wait_loadcnt 0x0
	s_delay_alu instid0(VALU_DEP_1) | instskip(NEXT) | instid1(VALU_DEP_1)
	v_dual_mov_b32 v3, v2 :: v_dual_add_nc_u32 v4, v3, v8
	v_dual_mov_b32 v4, v11 :: v_dual_bitop2_b32 v7, -2, v4 bitop3:0x40
.LBB1_6:                                ;   Parent Loop BB1_3 Depth=1
                                        ; =>  This Inner Loop Header: Depth=2
	s_delay_alu instid0(VALU_DEP_1) | instskip(NEXT) | instid1(VALU_DEP_1)
	v_dual_ashrrev_i32 v5, 31, v4 :: v_dual_add_nc_u32 v7, -2, v7
	v_lshlrev_b64_e32 v[12:13], 2, v[4:5]
	s_delay_alu instid0(VALU_DEP_2) | instskip(SKIP_2) | instid1(VALU_DEP_3)
	v_cmp_eq_u32_e32 vcc_lo, 0, v7
	v_add_nc_u32_e32 v4, 2, v4
	s_or_b32 s19, vcc_lo, s19
	v_add_nc_u64_e32 v[14:15], s[4:5], v[12:13]
	v_add_nc_u64_e32 v[12:13], s[10:11], v[12:13]
	global_load_b64 v[14:15], v[14:15], off
	s_wait_loadcnt 0x0
	s_wait_xcnt 0x0
	v_pk_add_f32 v[14:15], v[2:3], v[14:15]
	global_store_b64 v[12:13], v[14:15], off
	s_wait_xcnt 0x0
	s_and_not1_b32 exec_lo, exec_lo, s19
	s_cbranch_execnz .LBB1_6
; %bb.7:                                ;   in Loop: Header=BB1_3 Depth=1
	s_or_b32 exec_lo, exec_lo, s19
	v_and_b32_e32 v3, -2, v6
	s_delay_alu instid0(VALU_DEP_1)
	v_cmp_ne_u32_e32 vcc_lo, v6, v3
	v_add_nc_u32_e32 v4, v9, v3
	s_or_not1_b32 s19, vcc_lo, exec_lo
.LBB1_8:                                ;   in Loop: Header=BB1_3 Depth=1
	s_or_b32 exec_lo, exec_lo, s18
	s_delay_alu instid0(SALU_CYCLE_1)
	s_and_b32 exec_lo, exec_lo, s19
	s_cbranch_execz .LBB1_2
; %bb.9:                                ;   in Loop: Header=BB1_3 Depth=1
	v_ashrrev_i32_e32 v5, 31, v4
	s_mov_b32 s18, 0
	s_delay_alu instid0(VALU_DEP_1) | instskip(NEXT) | instid1(VALU_DEP_1)
	v_add_nc_u64_e32 v[6:7], s[8:9], v[4:5]
	v_lshlrev_b64_e32 v[6:7], 2, v[6:7]
.LBB1_10:                               ;   Parent Loop BB1_3 Depth=1
                                        ; =>  This Inner Loop Header: Depth=2
	s_delay_alu instid0(VALU_DEP_1)
	v_add_nc_u64_e32 v[12:13], s[4:5], v[6:7]
	global_load_b32 v3, v[12:13], off
	v_add_nc_u32_e32 v4, s2, v4
	s_wait_xcnt 0x0
	v_add_nc_u64_e32 v[12:13], s[10:11], v[6:7]
	v_add_nc_u64_e32 v[6:7], s[0:1], v[6:7]
	s_wait_loadcnt 0x0
	v_add_f32_e32 v3, v2, v3
	v_cmp_le_i32_e32 vcc_lo, s15, v4
	global_store_b32 v[12:13], v3, off
	s_or_b32 s18, vcc_lo, s18
	s_wait_xcnt 0x0
	s_and_not1_b32 exec_lo, exec_lo, s18
	s_cbranch_execnz .LBB1_10
	s_branch .LBB1_2
.LBB1_11:
	s_endpgm
	.section	.rodata,"a",@progbits
	.p2align	6, 0x0
	.amdhsa_kernel _Z12dense_esuhm2IfEvPKT_S2_PS0_iPKi
		.amdhsa_group_segment_fixed_size 0
		.amdhsa_private_segment_fixed_size 0
		.amdhsa_kernarg_size 296
		.amdhsa_user_sgpr_count 2
		.amdhsa_user_sgpr_dispatch_ptr 0
		.amdhsa_user_sgpr_queue_ptr 0
		.amdhsa_user_sgpr_kernarg_segment_ptr 1
		.amdhsa_user_sgpr_dispatch_id 0
		.amdhsa_user_sgpr_kernarg_preload_length 0
		.amdhsa_user_sgpr_kernarg_preload_offset 0
		.amdhsa_user_sgpr_private_segment_size 0
		.amdhsa_wavefront_size32 1
		.amdhsa_uses_dynamic_stack 0
		.amdhsa_enable_private_segment 0
		.amdhsa_system_sgpr_workgroup_id_x 1
		.amdhsa_system_sgpr_workgroup_id_y 0
		.amdhsa_system_sgpr_workgroup_id_z 0
		.amdhsa_system_sgpr_workgroup_info 0
		.amdhsa_system_vgpr_workitem_id 0
		.amdhsa_next_free_vgpr 16
		.amdhsa_next_free_sgpr 21
		.amdhsa_named_barrier_count 0
		.amdhsa_reserve_vcc 1
		.amdhsa_float_round_mode_32 0
		.amdhsa_float_round_mode_16_64 0
		.amdhsa_float_denorm_mode_32 3
		.amdhsa_float_denorm_mode_16_64 3
		.amdhsa_fp16_overflow 0
		.amdhsa_memory_ordered 1
		.amdhsa_forward_progress 1
		.amdhsa_inst_pref_size 5
		.amdhsa_round_robin_scheduling 0
		.amdhsa_exception_fp_ieee_invalid_op 0
		.amdhsa_exception_fp_denorm_src 0
		.amdhsa_exception_fp_ieee_div_zero 0
		.amdhsa_exception_fp_ieee_overflow 0
		.amdhsa_exception_fp_ieee_underflow 0
		.amdhsa_exception_fp_ieee_inexact 0
		.amdhsa_exception_int_div_zero 0
	.end_amdhsa_kernel
	.section	.text._Z12dense_esuhm2IfEvPKT_S2_PS0_iPKi,"axG",@progbits,_Z12dense_esuhm2IfEvPKT_S2_PS0_iPKi,comdat
.Lfunc_end1:
	.size	_Z12dense_esuhm2IfEvPKT_S2_PS0_iPKi, .Lfunc_end1-_Z12dense_esuhm2IfEvPKT_S2_PS0_iPKi
                                        ; -- End function
	.set _Z12dense_esuhm2IfEvPKT_S2_PS0_iPKi.num_vgpr, 16
	.set _Z12dense_esuhm2IfEvPKT_S2_PS0_iPKi.num_agpr, 0
	.set _Z12dense_esuhm2IfEvPKT_S2_PS0_iPKi.numbered_sgpr, 21
	.set _Z12dense_esuhm2IfEvPKT_S2_PS0_iPKi.num_named_barrier, 0
	.set _Z12dense_esuhm2IfEvPKT_S2_PS0_iPKi.private_seg_size, 0
	.set _Z12dense_esuhm2IfEvPKT_S2_PS0_iPKi.uses_vcc, 1
	.set _Z12dense_esuhm2IfEvPKT_S2_PS0_iPKi.uses_flat_scratch, 0
	.set _Z12dense_esuhm2IfEvPKT_S2_PS0_iPKi.has_dyn_sized_stack, 0
	.set _Z12dense_esuhm2IfEvPKT_S2_PS0_iPKi.has_recursion, 0
	.set _Z12dense_esuhm2IfEvPKT_S2_PS0_iPKi.has_indirect_call, 0
	.section	.AMDGPU.csdata,"",@progbits
; Kernel info:
; codeLenInByte = 628
; TotalNumSgprs: 23
; NumVgprs: 16
; ScratchSize: 0
; MemoryBound: 0
; FloatMode: 240
; IeeeMode: 1
; LDSByteSize: 0 bytes/workgroup (compile time only)
; SGPRBlocks: 0
; VGPRBlocks: 0
; NumSGPRsForWavesPerEU: 23
; NumVGPRsForWavesPerEU: 16
; NamedBarCnt: 0
; Occupancy: 16
; WaveLimiterHint : 0
; COMPUTE_PGM_RSRC2:SCRATCH_EN: 0
; COMPUTE_PGM_RSRC2:USER_SGPR: 2
; COMPUTE_PGM_RSRC2:TRAP_HANDLER: 0
; COMPUTE_PGM_RSRC2:TGID_X_EN: 1
; COMPUTE_PGM_RSRC2:TGID_Y_EN: 0
; COMPUTE_PGM_RSRC2:TGID_Z_EN: 0
; COMPUTE_PGM_RSRC2:TIDIG_COMP_CNT: 0
	.section	.text._Z12dense_esuhm3IfEvPKT_S2_PS0_iPKi,"axG",@progbits,_Z12dense_esuhm3IfEvPKT_S2_PS0_iPKi,comdat
	.protected	_Z12dense_esuhm3IfEvPKT_S2_PS0_iPKi ; -- Begin function _Z12dense_esuhm3IfEvPKT_S2_PS0_iPKi
	.globl	_Z12dense_esuhm3IfEvPKT_S2_PS0_iPKi
	.p2align	8
	.type	_Z12dense_esuhm3IfEvPKT_S2_PS0_iPKi,@function
_Z12dense_esuhm3IfEvPKT_S2_PS0_iPKi:    ; @_Z12dense_esuhm3IfEvPKT_S2_PS0_iPKi
; %bb.0:
	s_load_b64 s[4:5], s[0:1], 0x20
	s_bfe_u32 s2, ttmp6, 0x4000c
	s_and_b32 s3, ttmp6, 15
	s_add_co_i32 s2, s2, 1
	s_getreg_b32 s6, hwreg(HW_REG_IB_STS2, 6, 4)
	s_mul_i32 s2, ttmp9, s2
	s_delay_alu instid0(SALU_CYCLE_1) | instskip(SKIP_2) | instid1(SALU_CYCLE_1)
	s_add_co_i32 s3, s3, s2
	s_cmp_eq_u32 s6, 0
	s_cselect_b32 s2, ttmp9, s3
	s_ashr_i32 s3, s2, 31
	s_delay_alu instid0(SALU_CYCLE_1)
	s_lshl_b64 s[6:7], s[2:3], 2
	s_mov_b32 s3, 0
	s_wait_kmcnt 0x0
	s_add_nc_u64 s[4:5], s[4:5], s[6:7]
	s_load_b64 s[12:13], s[4:5], 0x0
	s_wait_kmcnt 0x0
	s_sub_co_i32 s11, s13, s12
	s_delay_alu instid0(SALU_CYCLE_1)
	s_cmp_lt_i32 s11, 1
	s_cbranch_scc1 .LBB2_5
; %bb.1:
	s_load_b96 s[8:10], s[0:1], 0x10
	v_mov_b32_e32 v3, 0
	s_wait_kmcnt 0x0
	s_abs_i32 s13, s10
	s_delay_alu instid0(SALU_CYCLE_1) | instskip(NEXT) | instid1(SALU_CYCLE_3)
	s_cvt_f32_u32 s4, s13
	v_rcp_iflag_f32_e32 v1, s4
	s_clause 0x1
	s_load_b32 s14, s[0:1], 0x34
	s_load_b128 s[4:7], s[0:1], 0x0
	s_wait_xcnt 0x0
	v_nop
	s_delay_alu instid0(TRANS32_DEP_1) | instskip(SKIP_2) | instid1(SALU_CYCLE_3)
	v_readfirstlane_b32 s0, v1
	v_add_nc_u32_e32 v1, s12, v0
	s_mul_f32 s0, s0, 0x4f7ffffe
	s_cvt_u32_f32 s15, s0
	s_sub_co_i32 s0, 0, s13
	s_delay_alu instid0(SALU_CYCLE_2)
	s_mul_i32 s1, s0, s15
	s_mul_i32 s0, s10, s2
	s_mul_hi_u32 s2, s15, s1
	s_wait_kmcnt 0x0
	s_and_b32 s1, s14, 0xffff
	s_add_co_i32 s2, s15, s2
	s_mov_b32 s10, s3
	s_branch .LBB2_3
.LBB2_2:                                ;   in Loop: Header=BB2_3 Depth=1
	s_wait_xcnt 0x0
	s_or_b32 exec_lo, exec_lo, s12
	s_add_co_i32 s10, s10, s1
	s_delay_alu instid0(SALU_CYCLE_1)
	s_cmp_ge_i32 s10, s11
	s_cbranch_scc1 .LBB2_5
.LBB2_3:                                ; =>This Inner Loop Header: Depth=1
	v_add_nc_u32_e32 v4, s10, v0
	s_mov_b32 s12, exec_lo
	s_delay_alu instid0(VALU_DEP_1)
	v_cmpx_gt_i32_e64 s11, v4
	s_cbranch_execz .LBB2_2
; %bb.4:                                ;   in Loop: Header=BB2_3 Depth=1
	v_sub_nc_u32_e32 v2, 0, v4
	s_delay_alu instid0(VALU_DEP_1) | instskip(NEXT) | instid1(VALU_DEP_1)
	v_dual_ashrrev_i32 v4, 31, v4 :: v_dual_max_i32 v2, v4, v2
	v_mul_u64_e32 v[6:7], s[2:3], v[2:3]
	s_delay_alu instid0(VALU_DEP_1) | instskip(NEXT) | instid1(VALU_DEP_1)
	v_mul_lo_u32 v5, v7, s13
	v_sub_nc_u32_e32 v2, v2, v5
	s_delay_alu instid0(VALU_DEP_1) | instskip(SKIP_1) | instid1(VALU_DEP_2)
	v_subrev_nc_u32_e32 v5, s13, v2
	v_cmp_le_u32_e32 vcc_lo, s13, v2
	v_cndmask_b32_e32 v2, v2, v5, vcc_lo
	s_delay_alu instid0(VALU_DEP_1) | instskip(SKIP_1) | instid1(VALU_DEP_2)
	v_subrev_nc_u32_e32 v5, s13, v2
	v_cmp_le_u32_e32 vcc_lo, s13, v2
	v_cndmask_b32_e32 v2, v2, v5, vcc_lo
	s_delay_alu instid0(VALU_DEP_1) | instskip(NEXT) | instid1(VALU_DEP_1)
	v_xor_b32_e32 v2, v2, v4
	v_dual_sub_nc_u32 v2, v2, v4 :: v_dual_add_nc_u32 v4, s10, v1
	s_delay_alu instid0(VALU_DEP_1)
	v_add_nc_u32_e32 v2, s0, v2
	global_load_b32 v5, v4, s[4:5] scale_offset
	global_load_b32 v6, v2, s[6:7] scale_offset
	s_wait_loadcnt 0x0
	s_wait_xcnt 0x0
	v_add_f32_e32 v2, v5, v6
	global_store_b32 v4, v2, s[8:9] scale_offset
	s_branch .LBB2_2
.LBB2_5:
	s_endpgm
	.section	.rodata,"a",@progbits
	.p2align	6, 0x0
	.amdhsa_kernel _Z12dense_esuhm3IfEvPKT_S2_PS0_iPKi
		.amdhsa_group_segment_fixed_size 0
		.amdhsa_private_segment_fixed_size 0
		.amdhsa_kernarg_size 296
		.amdhsa_user_sgpr_count 2
		.amdhsa_user_sgpr_dispatch_ptr 0
		.amdhsa_user_sgpr_queue_ptr 0
		.amdhsa_user_sgpr_kernarg_segment_ptr 1
		.amdhsa_user_sgpr_dispatch_id 0
		.amdhsa_user_sgpr_kernarg_preload_length 0
		.amdhsa_user_sgpr_kernarg_preload_offset 0
		.amdhsa_user_sgpr_private_segment_size 0
		.amdhsa_wavefront_size32 1
		.amdhsa_uses_dynamic_stack 0
		.amdhsa_enable_private_segment 0
		.amdhsa_system_sgpr_workgroup_id_x 1
		.amdhsa_system_sgpr_workgroup_id_y 0
		.amdhsa_system_sgpr_workgroup_id_z 0
		.amdhsa_system_sgpr_workgroup_info 0
		.amdhsa_system_vgpr_workitem_id 0
		.amdhsa_next_free_vgpr 8
		.amdhsa_next_free_sgpr 16
		.amdhsa_named_barrier_count 0
		.amdhsa_reserve_vcc 1
		.amdhsa_float_round_mode_32 0
		.amdhsa_float_round_mode_16_64 0
		.amdhsa_float_denorm_mode_32 3
		.amdhsa_float_denorm_mode_16_64 3
		.amdhsa_fp16_overflow 0
		.amdhsa_memory_ordered 1
		.amdhsa_forward_progress 1
		.amdhsa_inst_pref_size 4
		.amdhsa_round_robin_scheduling 0
		.amdhsa_exception_fp_ieee_invalid_op 0
		.amdhsa_exception_fp_denorm_src 0
		.amdhsa_exception_fp_ieee_div_zero 0
		.amdhsa_exception_fp_ieee_overflow 0
		.amdhsa_exception_fp_ieee_underflow 0
		.amdhsa_exception_fp_ieee_inexact 0
		.amdhsa_exception_int_div_zero 0
	.end_amdhsa_kernel
	.section	.text._Z12dense_esuhm3IfEvPKT_S2_PS0_iPKi,"axG",@progbits,_Z12dense_esuhm3IfEvPKT_S2_PS0_iPKi,comdat
.Lfunc_end2:
	.size	_Z12dense_esuhm3IfEvPKT_S2_PS0_iPKi, .Lfunc_end2-_Z12dense_esuhm3IfEvPKT_S2_PS0_iPKi
                                        ; -- End function
	.set _Z12dense_esuhm3IfEvPKT_S2_PS0_iPKi.num_vgpr, 8
	.set _Z12dense_esuhm3IfEvPKT_S2_PS0_iPKi.num_agpr, 0
	.set _Z12dense_esuhm3IfEvPKT_S2_PS0_iPKi.numbered_sgpr, 16
	.set _Z12dense_esuhm3IfEvPKT_S2_PS0_iPKi.num_named_barrier, 0
	.set _Z12dense_esuhm3IfEvPKT_S2_PS0_iPKi.private_seg_size, 0
	.set _Z12dense_esuhm3IfEvPKT_S2_PS0_iPKi.uses_vcc, 1
	.set _Z12dense_esuhm3IfEvPKT_S2_PS0_iPKi.uses_flat_scratch, 0
	.set _Z12dense_esuhm3IfEvPKT_S2_PS0_iPKi.has_dyn_sized_stack, 0
	.set _Z12dense_esuhm3IfEvPKT_S2_PS0_iPKi.has_recursion, 0
	.set _Z12dense_esuhm3IfEvPKT_S2_PS0_iPKi.has_indirect_call, 0
	.section	.AMDGPU.csdata,"",@progbits
; Kernel info:
; codeLenInByte = 432
; TotalNumSgprs: 18
; NumVgprs: 8
; ScratchSize: 0
; MemoryBound: 0
; FloatMode: 240
; IeeeMode: 1
; LDSByteSize: 0 bytes/workgroup (compile time only)
; SGPRBlocks: 0
; VGPRBlocks: 0
; NumSGPRsForWavesPerEU: 18
; NumVGPRsForWavesPerEU: 8
; NamedBarCnt: 0
; Occupancy: 16
; WaveLimiterHint : 1
; COMPUTE_PGM_RSRC2:SCRATCH_EN: 0
; COMPUTE_PGM_RSRC2:USER_SGPR: 2
; COMPUTE_PGM_RSRC2:TRAP_HANDLER: 0
; COMPUTE_PGM_RSRC2:TGID_X_EN: 1
; COMPUTE_PGM_RSRC2:TGID_Y_EN: 0
; COMPUTE_PGM_RSRC2:TGID_Z_EN: 0
; COMPUTE_PGM_RSRC2:TIDIG_COMP_CNT: 0
	.section	.AMDGPU.gpr_maximums,"",@progbits
	.set amdgpu.max_num_vgpr, 0
	.set amdgpu.max_num_agpr, 0
	.set amdgpu.max_num_sgpr, 0
	.section	.AMDGPU.csdata,"",@progbits
	.type	__hip_cuid_7aa68ba469095c8,@object ; @__hip_cuid_7aa68ba469095c8
	.section	.bss,"aw",@nobits
	.globl	__hip_cuid_7aa68ba469095c8
__hip_cuid_7aa68ba469095c8:
	.byte	0                               ; 0x0
	.size	__hip_cuid_7aa68ba469095c8, 1

	.ident	"AMD clang version 22.0.0git (https://github.com/RadeonOpenCompute/llvm-project roc-7.2.4 26084 f58b06dce1f9c15707c5f808fd002e18c2accf7e)"
	.section	".note.GNU-stack","",@progbits
	.addrsig
	.addrsig_sym __hip_cuid_7aa68ba469095c8
	.amdgpu_metadata
---
amdhsa.kernels:
  - .args:
      - .actual_access:  read_only
        .address_space:  global
        .offset:         0
        .size:           8
        .value_kind:     global_buffer
      - .actual_access:  read_only
        .address_space:  global
        .offset:         8
        .size:           8
        .value_kind:     global_buffer
      - .address_space:  global
        .offset:         16
        .size:           8
        .value_kind:     global_buffer
      - .offset:         24
        .size:           4
        .value_kind:     by_value
      - .actual_access:  read_only
        .address_space:  global
        .offset:         32
        .size:           8
        .value_kind:     global_buffer
      - .offset:         40
        .size:           4
        .value_kind:     hidden_block_count_x
      - .offset:         44
        .size:           4
        .value_kind:     hidden_block_count_y
      - .offset:         48
        .size:           4
        .value_kind:     hidden_block_count_z
      - .offset:         52
        .size:           2
        .value_kind:     hidden_group_size_x
      - .offset:         54
        .size:           2
        .value_kind:     hidden_group_size_y
      - .offset:         56
        .size:           2
        .value_kind:     hidden_group_size_z
      - .offset:         58
        .size:           2
        .value_kind:     hidden_remainder_x
      - .offset:         60
        .size:           2
        .value_kind:     hidden_remainder_y
      - .offset:         62
        .size:           2
        .value_kind:     hidden_remainder_z
      - .offset:         80
        .size:           8
        .value_kind:     hidden_global_offset_x
      - .offset:         88
        .size:           8
        .value_kind:     hidden_global_offset_y
      - .offset:         96
        .size:           8
        .value_kind:     hidden_global_offset_z
      - .offset:         104
        .size:           2
        .value_kind:     hidden_grid_dims
    .group_segment_fixed_size: 0
    .kernarg_segment_align: 8
    .kernarg_segment_size: 296
    .language:       OpenCL C
    .language_version:
      - 2
      - 0
    .max_flat_workgroup_size: 1024
    .name:           _Z11dense_esuhmIfEvPKT_S2_PS0_iPKi
    .private_segment_fixed_size: 0
    .sgpr_count:     23
    .sgpr_spill_count: 0
    .symbol:         _Z11dense_esuhmIfEvPKT_S2_PS0_iPKi.kd
    .uniform_work_group_size: 1
    .uses_dynamic_stack: false
    .vgpr_count:     16
    .vgpr_spill_count: 0
    .wavefront_size: 32
  - .args:
      - .actual_access:  read_only
        .address_space:  global
        .offset:         0
        .size:           8
        .value_kind:     global_buffer
      - .actual_access:  read_only
        .address_space:  global
        .offset:         8
        .size:           8
        .value_kind:     global_buffer
      - .address_space:  global
        .offset:         16
        .size:           8
        .value_kind:     global_buffer
      - .offset:         24
        .size:           4
        .value_kind:     by_value
      - .actual_access:  read_only
        .address_space:  global
        .offset:         32
        .size:           8
        .value_kind:     global_buffer
      - .offset:         40
        .size:           4
        .value_kind:     hidden_block_count_x
      - .offset:         44
        .size:           4
        .value_kind:     hidden_block_count_y
      - .offset:         48
        .size:           4
        .value_kind:     hidden_block_count_z
      - .offset:         52
        .size:           2
        .value_kind:     hidden_group_size_x
      - .offset:         54
        .size:           2
        .value_kind:     hidden_group_size_y
      - .offset:         56
        .size:           2
        .value_kind:     hidden_group_size_z
      - .offset:         58
        .size:           2
        .value_kind:     hidden_remainder_x
      - .offset:         60
        .size:           2
        .value_kind:     hidden_remainder_y
      - .offset:         62
        .size:           2
        .value_kind:     hidden_remainder_z
      - .offset:         80
        .size:           8
        .value_kind:     hidden_global_offset_x
      - .offset:         88
        .size:           8
        .value_kind:     hidden_global_offset_y
      - .offset:         96
        .size:           8
        .value_kind:     hidden_global_offset_z
      - .offset:         104
        .size:           2
        .value_kind:     hidden_grid_dims
    .group_segment_fixed_size: 0
    .kernarg_segment_align: 8
    .kernarg_segment_size: 296
    .language:       OpenCL C
    .language_version:
      - 2
      - 0
    .max_flat_workgroup_size: 1024
    .name:           _Z12dense_esuhm2IfEvPKT_S2_PS0_iPKi
    .private_segment_fixed_size: 0
    .sgpr_count:     23
    .sgpr_spill_count: 0
    .symbol:         _Z12dense_esuhm2IfEvPKT_S2_PS0_iPKi.kd
    .uniform_work_group_size: 1
    .uses_dynamic_stack: false
    .vgpr_count:     16
    .vgpr_spill_count: 0
    .wavefront_size: 32
  - .args:
      - .actual_access:  read_only
        .address_space:  global
        .offset:         0
        .size:           8
        .value_kind:     global_buffer
      - .actual_access:  read_only
        .address_space:  global
        .offset:         8
        .size:           8
        .value_kind:     global_buffer
      - .address_space:  global
        .offset:         16
        .size:           8
        .value_kind:     global_buffer
      - .offset:         24
        .size:           4
        .value_kind:     by_value
      - .actual_access:  read_only
        .address_space:  global
        .offset:         32
        .size:           8
        .value_kind:     global_buffer
      - .offset:         40
        .size:           4
        .value_kind:     hidden_block_count_x
      - .offset:         44
        .size:           4
        .value_kind:     hidden_block_count_y
      - .offset:         48
        .size:           4
        .value_kind:     hidden_block_count_z
      - .offset:         52
        .size:           2
        .value_kind:     hidden_group_size_x
      - .offset:         54
        .size:           2
        .value_kind:     hidden_group_size_y
      - .offset:         56
        .size:           2
        .value_kind:     hidden_group_size_z
      - .offset:         58
        .size:           2
        .value_kind:     hidden_remainder_x
      - .offset:         60
        .size:           2
        .value_kind:     hidden_remainder_y
      - .offset:         62
        .size:           2
        .value_kind:     hidden_remainder_z
      - .offset:         80
        .size:           8
        .value_kind:     hidden_global_offset_x
      - .offset:         88
        .size:           8
        .value_kind:     hidden_global_offset_y
      - .offset:         96
        .size:           8
        .value_kind:     hidden_global_offset_z
      - .offset:         104
        .size:           2
        .value_kind:     hidden_grid_dims
    .group_segment_fixed_size: 0
    .kernarg_segment_align: 8
    .kernarg_segment_size: 296
    .language:       OpenCL C
    .language_version:
      - 2
      - 0
    .max_flat_workgroup_size: 1024
    .name:           _Z12dense_esuhm3IfEvPKT_S2_PS0_iPKi
    .private_segment_fixed_size: 0
    .sgpr_count:     18
    .sgpr_spill_count: 0
    .symbol:         _Z12dense_esuhm3IfEvPKT_S2_PS0_iPKi.kd
    .uniform_work_group_size: 1
    .uses_dynamic_stack: false
    .vgpr_count:     8
    .vgpr_spill_count: 0
    .wavefront_size: 32
amdhsa.target:   amdgcn-amd-amdhsa--gfx1250
amdhsa.version:
  - 1
  - 2
...

	.end_amdgpu_metadata
